;; amdgpu-corpus repo=ROCm/rocFFT kind=compiled arch=gfx906 opt=O3
	.text
	.amdgcn_target "amdgcn-amd-amdhsa--gfx906"
	.amdhsa_code_object_version 6
	.protected	fft_rtc_back_len385_factors_11_7_5_wgs_55_tpt_55_dp_op_CI_CI_sbrr_dirReg ; -- Begin function fft_rtc_back_len385_factors_11_7_5_wgs_55_tpt_55_dp_op_CI_CI_sbrr_dirReg
	.globl	fft_rtc_back_len385_factors_11_7_5_wgs_55_tpt_55_dp_op_CI_CI_sbrr_dirReg
	.p2align	8
	.type	fft_rtc_back_len385_factors_11_7_5_wgs_55_tpt_55_dp_op_CI_CI_sbrr_dirReg,@function
fft_rtc_back_len385_factors_11_7_5_wgs_55_tpt_55_dp_op_CI_CI_sbrr_dirReg: ; @fft_rtc_back_len385_factors_11_7_5_wgs_55_tpt_55_dp_op_CI_CI_sbrr_dirReg
; %bb.0:
	s_load_dwordx4 s[16:19], s[4:5], 0x18
	s_load_dwordx4 s[12:15], s[4:5], 0x0
	;; [unrolled: 1-line block ×3, first 2 shown]
	v_mul_u32_u24_e32 v1, 0x4a8, v0
	v_add_u32_sdwa v5, s6, v1 dst_sel:DWORD dst_unused:UNUSED_PAD src0_sel:DWORD src1_sel:WORD_1
	s_waitcnt lgkmcnt(0)
	s_load_dwordx2 s[22:23], s[16:17], 0x0
	s_load_dwordx2 s[20:21], s[18:19], 0x0
	v_cmp_lt_u64_e64 s[0:1], s[14:15], 2
	v_mov_b32_e32 v3, 0
	v_mov_b32_e32 v1, 0
	;; [unrolled: 1-line block ×3, first 2 shown]
	s_and_b64 vcc, exec, s[0:1]
	v_mov_b32_e32 v2, 0
	s_cbranch_vccnz .LBB0_8
; %bb.1:
	s_load_dwordx2 s[0:1], s[4:5], 0x10
	s_add_u32 s2, s18, 8
	s_addc_u32 s3, s19, 0
	s_add_u32 s6, s16, 8
	v_mov_b32_e32 v1, 0
	s_addc_u32 s7, s17, 0
	v_mov_b32_e32 v2, 0
	s_waitcnt lgkmcnt(0)
	s_add_u32 s24, s0, 8
	v_mov_b32_e32 v57, v2
	s_addc_u32 s25, s1, 0
	s_mov_b64 s[26:27], 1
	v_mov_b32_e32 v56, v1
.LBB0_2:                                ; =>This Inner Loop Header: Depth=1
	s_load_dwordx2 s[28:29], s[24:25], 0x0
                                        ; implicit-def: $vgpr58_vgpr59
	s_waitcnt lgkmcnt(0)
	v_or_b32_e32 v4, s29, v6
	v_cmp_ne_u64_e32 vcc, 0, v[3:4]
	s_and_saveexec_b64 s[0:1], vcc
	s_xor_b64 s[30:31], exec, s[0:1]
	s_cbranch_execz .LBB0_4
; %bb.3:                                ;   in Loop: Header=BB0_2 Depth=1
	v_cvt_f32_u32_e32 v4, s28
	v_cvt_f32_u32_e32 v7, s29
	s_sub_u32 s0, 0, s28
	s_subb_u32 s1, 0, s29
	v_mac_f32_e32 v4, 0x4f800000, v7
	v_rcp_f32_e32 v4, v4
	v_mul_f32_e32 v4, 0x5f7ffffc, v4
	v_mul_f32_e32 v7, 0x2f800000, v4
	v_trunc_f32_e32 v7, v7
	v_mac_f32_e32 v4, 0xcf800000, v7
	v_cvt_u32_f32_e32 v7, v7
	v_cvt_u32_f32_e32 v4, v4
	v_mul_lo_u32 v8, s0, v7
	v_mul_hi_u32 v9, s0, v4
	v_mul_lo_u32 v11, s1, v4
	v_mul_lo_u32 v10, s0, v4
	v_add_u32_e32 v8, v9, v8
	v_add_u32_e32 v8, v8, v11
	v_mul_hi_u32 v9, v4, v10
	v_mul_lo_u32 v11, v4, v8
	v_mul_hi_u32 v13, v4, v8
	v_mul_hi_u32 v12, v7, v10
	v_mul_lo_u32 v10, v7, v10
	v_mul_hi_u32 v14, v7, v8
	v_add_co_u32_e32 v9, vcc, v9, v11
	v_addc_co_u32_e32 v11, vcc, 0, v13, vcc
	v_mul_lo_u32 v8, v7, v8
	v_add_co_u32_e32 v9, vcc, v9, v10
	v_addc_co_u32_e32 v9, vcc, v11, v12, vcc
	v_addc_co_u32_e32 v10, vcc, 0, v14, vcc
	v_add_co_u32_e32 v8, vcc, v9, v8
	v_addc_co_u32_e32 v9, vcc, 0, v10, vcc
	v_add_co_u32_e32 v4, vcc, v4, v8
	v_addc_co_u32_e32 v7, vcc, v7, v9, vcc
	v_mul_lo_u32 v8, s0, v7
	v_mul_hi_u32 v9, s0, v4
	v_mul_lo_u32 v10, s1, v4
	v_mul_lo_u32 v11, s0, v4
	v_add_u32_e32 v8, v9, v8
	v_add_u32_e32 v8, v8, v10
	v_mul_lo_u32 v12, v4, v8
	v_mul_hi_u32 v13, v4, v11
	v_mul_hi_u32 v14, v4, v8
	;; [unrolled: 1-line block ×3, first 2 shown]
	v_mul_lo_u32 v11, v7, v11
	v_mul_hi_u32 v9, v7, v8
	v_add_co_u32_e32 v12, vcc, v13, v12
	v_addc_co_u32_e32 v13, vcc, 0, v14, vcc
	v_mul_lo_u32 v8, v7, v8
	v_add_co_u32_e32 v11, vcc, v12, v11
	v_addc_co_u32_e32 v10, vcc, v13, v10, vcc
	v_addc_co_u32_e32 v9, vcc, 0, v9, vcc
	v_add_co_u32_e32 v8, vcc, v10, v8
	v_addc_co_u32_e32 v9, vcc, 0, v9, vcc
	v_add_co_u32_e32 v4, vcc, v4, v8
	v_addc_co_u32_e32 v9, vcc, v7, v9, vcc
	v_mad_u64_u32 v[7:8], s[0:1], v5, v9, 0
	v_mul_hi_u32 v10, v5, v4
	v_add_co_u32_e32 v11, vcc, v10, v7
	v_addc_co_u32_e32 v12, vcc, 0, v8, vcc
	v_mad_u64_u32 v[7:8], s[0:1], v6, v4, 0
	v_mad_u64_u32 v[9:10], s[0:1], v6, v9, 0
	v_add_co_u32_e32 v4, vcc, v11, v7
	v_addc_co_u32_e32 v4, vcc, v12, v8, vcc
	v_addc_co_u32_e32 v7, vcc, 0, v10, vcc
	v_add_co_u32_e32 v4, vcc, v4, v9
	v_addc_co_u32_e32 v9, vcc, 0, v7, vcc
	v_mul_lo_u32 v10, s29, v4
	v_mul_lo_u32 v11, s28, v9
	v_mad_u64_u32 v[7:8], s[0:1], s28, v4, 0
	v_add3_u32 v8, v8, v11, v10
	v_sub_u32_e32 v10, v6, v8
	v_mov_b32_e32 v11, s29
	v_sub_co_u32_e32 v7, vcc, v5, v7
	v_subb_co_u32_e64 v10, s[0:1], v10, v11, vcc
	v_subrev_co_u32_e64 v11, s[0:1], s28, v7
	v_subbrev_co_u32_e64 v10, s[0:1], 0, v10, s[0:1]
	v_cmp_le_u32_e64 s[0:1], s29, v10
	v_cndmask_b32_e64 v12, 0, -1, s[0:1]
	v_cmp_le_u32_e64 s[0:1], s28, v11
	v_cndmask_b32_e64 v11, 0, -1, s[0:1]
	v_cmp_eq_u32_e64 s[0:1], s29, v10
	v_cndmask_b32_e64 v10, v12, v11, s[0:1]
	v_add_co_u32_e64 v11, s[0:1], 2, v4
	v_addc_co_u32_e64 v12, s[0:1], 0, v9, s[0:1]
	v_add_co_u32_e64 v13, s[0:1], 1, v4
	v_addc_co_u32_e64 v14, s[0:1], 0, v9, s[0:1]
	v_subb_co_u32_e32 v8, vcc, v6, v8, vcc
	v_cmp_ne_u32_e64 s[0:1], 0, v10
	v_cmp_le_u32_e32 vcc, s29, v8
	v_cndmask_b32_e64 v10, v14, v12, s[0:1]
	v_cndmask_b32_e64 v12, 0, -1, vcc
	v_cmp_le_u32_e32 vcc, s28, v7
	v_cndmask_b32_e64 v7, 0, -1, vcc
	v_cmp_eq_u32_e32 vcc, s29, v8
	v_cndmask_b32_e32 v7, v12, v7, vcc
	v_cmp_ne_u32_e32 vcc, 0, v7
	v_cndmask_b32_e64 v7, v13, v11, s[0:1]
	v_cndmask_b32_e32 v59, v9, v10, vcc
	v_cndmask_b32_e32 v58, v4, v7, vcc
.LBB0_4:                                ;   in Loop: Header=BB0_2 Depth=1
	s_andn2_saveexec_b64 s[0:1], s[30:31]
	s_cbranch_execz .LBB0_6
; %bb.5:                                ;   in Loop: Header=BB0_2 Depth=1
	v_cvt_f32_u32_e32 v4, s28
	s_sub_i32 s30, 0, s28
	v_mov_b32_e32 v59, v3
	v_rcp_iflag_f32_e32 v4, v4
	v_mul_f32_e32 v4, 0x4f7ffffe, v4
	v_cvt_u32_f32_e32 v4, v4
	v_mul_lo_u32 v7, s30, v4
	v_mul_hi_u32 v7, v4, v7
	v_add_u32_e32 v4, v4, v7
	v_mul_hi_u32 v4, v5, v4
	v_mul_lo_u32 v7, v4, s28
	v_add_u32_e32 v8, 1, v4
	v_sub_u32_e32 v7, v5, v7
	v_subrev_u32_e32 v9, s28, v7
	v_cmp_le_u32_e32 vcc, s28, v7
	v_cndmask_b32_e32 v7, v7, v9, vcc
	v_cndmask_b32_e32 v4, v4, v8, vcc
	v_add_u32_e32 v8, 1, v4
	v_cmp_le_u32_e32 vcc, s28, v7
	v_cndmask_b32_e32 v58, v4, v8, vcc
.LBB0_6:                                ;   in Loop: Header=BB0_2 Depth=1
	s_or_b64 exec, exec, s[0:1]
	v_mul_lo_u32 v4, v59, s28
	v_mul_lo_u32 v9, v58, s29
	v_mad_u64_u32 v[7:8], s[0:1], v58, s28, 0
	s_load_dwordx2 s[0:1], s[6:7], 0x0
	s_load_dwordx2 s[28:29], s[2:3], 0x0
	v_add3_u32 v4, v8, v9, v4
	v_sub_co_u32_e32 v5, vcc, v5, v7
	v_subb_co_u32_e32 v4, vcc, v6, v4, vcc
	s_waitcnt lgkmcnt(0)
	v_mul_lo_u32 v6, s0, v4
	v_mul_lo_u32 v7, s1, v5
	v_mad_u64_u32 v[1:2], s[0:1], s0, v5, v[1:2]
	v_mul_lo_u32 v4, s28, v4
	v_mul_lo_u32 v8, s29, v5
	v_mad_u64_u32 v[56:57], s[0:1], s28, v5, v[56:57]
	s_add_u32 s26, s26, 1
	s_addc_u32 s27, s27, 0
	s_add_u32 s2, s2, 8
	v_add3_u32 v57, v8, v57, v4
	s_addc_u32 s3, s3, 0
	v_mov_b32_e32 v4, s14
	s_add_u32 s6, s6, 8
	v_mov_b32_e32 v5, s15
	s_addc_u32 s7, s7, 0
	v_cmp_ge_u64_e32 vcc, s[26:27], v[4:5]
	s_add_u32 s24, s24, 8
	v_add3_u32 v2, v7, v2, v6
	s_addc_u32 s25, s25, 0
	s_cbranch_vccnz .LBB0_9
; %bb.7:                                ;   in Loop: Header=BB0_2 Depth=1
	v_mov_b32_e32 v5, v58
	v_mov_b32_e32 v6, v59
	s_branch .LBB0_2
.LBB0_8:
	v_mov_b32_e32 v57, v2
	v_mov_b32_e32 v59, v6
	;; [unrolled: 1-line block ×4, first 2 shown]
.LBB0_9:
	s_load_dwordx2 s[0:1], s[4:5], 0x28
	s_lshl_b64 s[6:7], s[14:15], 3
	s_add_u32 s2, s18, s6
	s_addc_u32 s3, s19, s7
                                        ; implicit-def: $vgpr160
	s_waitcnt lgkmcnt(0)
	v_cmp_gt_u64_e32 vcc, s[0:1], v[58:59]
	v_cmp_le_u64_e64 s[0:1], s[0:1], v[58:59]
	s_and_saveexec_b64 s[4:5], s[0:1]
	s_xor_b64 s[0:1], exec, s[4:5]
; %bb.10:
	s_mov_b32 s4, 0x4a7904b
	v_mul_hi_u32 v1, v0, s4
	v_mul_u32_u24_e32 v1, 55, v1
	v_sub_u32_e32 v160, v0, v1
                                        ; implicit-def: $vgpr0
                                        ; implicit-def: $vgpr1_vgpr2
; %bb.11:
	s_andn2_saveexec_b64 s[4:5], s[0:1]
	s_cbranch_execz .LBB0_13
; %bb.12:
	s_add_u32 s0, s16, s6
	s_mov_b32 s6, 0x4a7904b
	v_mul_hi_u32 v3, v0, s6
	s_addc_u32 s1, s17, s7
	s_load_dwordx2 s[0:1], s[0:1], 0x0
	v_mul_u32_u24_e32 v3, 55, v3
	v_sub_u32_e32 v160, v0, v3
	v_mad_u64_u32 v[3:4], s[6:7], s22, v160, 0
	s_waitcnt lgkmcnt(0)
	v_mul_lo_u32 v9, s1, v58
	v_mul_lo_u32 v10, s0, v59
	v_mad_u64_u32 v[5:6], s[0:1], s0, v58, 0
	v_mov_b32_e32 v0, v4
	v_mad_u64_u32 v[7:8], s[0:1], s23, v160, v[0:1]
	v_add3_u32 v6, v6, v10, v9
	v_lshlrev_b64 v[5:6], 4, v[5:6]
	v_mov_b32_e32 v4, v7
	v_mov_b32_e32 v0, s9
	v_add_co_u32_e64 v7, s[0:1], s8, v5
	v_add_u32_e32 v9, 55, v160
	v_addc_co_u32_e64 v8, s[0:1], v0, v6, s[0:1]
	v_mad_u64_u32 v[5:6], s[0:1], s22, v9, 0
	v_lshlrev_b64 v[0:1], 4, v[1:2]
	v_add_u32_e32 v22, 0xdc, v160
	v_add_co_u32_e64 v23, s[0:1], v7, v0
	v_mov_b32_e32 v2, v6
	v_addc_co_u32_e64 v24, s[0:1], v8, v1, s[0:1]
	v_lshlrev_b64 v[0:1], 4, v[3:4]
	v_mad_u64_u32 v[2:3], s[0:1], s23, v9, v[2:3]
	v_add_u32_e32 v3, 0x6e, v160
	v_mad_u64_u32 v[8:9], s[0:1], s22, v3, 0
	v_add_co_u32_e64 v10, s[0:1], v23, v0
	v_mov_b32_e32 v6, v2
	v_mov_b32_e32 v2, v9
	v_addc_co_u32_e64 v11, s[0:1], v24, v1, s[0:1]
	v_mad_u64_u32 v[12:13], s[0:1], s23, v3, v[2:3]
	v_lshlrev_b64 v[0:1], 4, v[5:6]
	v_add_u32_e32 v25, 0x113, v160
	v_add_co_u32_e64 v13, s[0:1], v23, v0
	v_mov_b32_e32 v9, v12
	v_add_u32_e32 v12, 0xa5, v160
	v_addc_co_u32_e64 v14, s[0:1], v24, v1, s[0:1]
	global_load_dwordx4 v[0:3], v[10:11], off
	global_load_dwordx4 v[4:7], v[13:14], off
	v_mad_u64_u32 v[10:11], s[0:1], s22, v12, 0
	v_lshlrev_b64 v[8:9], 4, v[8:9]
	v_add_u32_e32 v26, 0x14a, v160
	v_add_co_u32_e64 v16, s[0:1], v23, v8
	v_mov_b32_e32 v8, v11
	v_addc_co_u32_e64 v17, s[0:1], v24, v9, s[0:1]
	v_mad_u64_u32 v[8:9], s[0:1], s23, v12, v[8:9]
	v_mad_u64_u32 v[18:19], s[0:1], s22, v22, 0
	v_mov_b32_e32 v11, v8
	v_lshlrev_b64 v[8:9], 4, v[10:11]
	v_add_co_u32_e64 v20, s[0:1], v23, v8
	v_addc_co_u32_e64 v21, s[0:1], v24, v9, s[0:1]
	global_load_dwordx4 v[8:11], v[16:17], off
	global_load_dwordx4 v[12:15], v[20:21], off
	v_mad_u64_u32 v[16:17], s[0:1], s22, v25, 0
	v_mad_u64_u32 v[19:20], s[0:1], s23, v22, v[19:20]
	;; [unrolled: 1-line block ×4, first 2 shown]
	v_lshlrev_b64 v[18:19], 4, v[18:19]
	v_mov_b32_e32 v17, v20
	v_add_co_u32_e64 v28, s[0:1], v23, v18
	v_mov_b32_e32 v18, v22
	v_addc_co_u32_e64 v29, s[0:1], v24, v19, s[0:1]
	v_mad_u64_u32 v[18:19], s[0:1], s23, v26, v[18:19]
	v_lshlrev_b64 v[16:17], 4, v[16:17]
	v_add_co_u32_e64 v30, s[0:1], v23, v16
	v_mov_b32_e32 v22, v18
	v_addc_co_u32_e64 v31, s[0:1], v24, v17, s[0:1]
	v_lshlrev_b64 v[16:17], 4, v[21:22]
	v_add_co_u32_e64 v32, s[0:1], v23, v16
	v_addc_co_u32_e64 v33, s[0:1], v24, v17, s[0:1]
	global_load_dwordx4 v[16:19], v[28:29], off
	global_load_dwordx4 v[20:23], v[30:31], off
	;; [unrolled: 1-line block ×3, first 2 shown]
	v_lshl_add_u32 v28, v160, 4, 0
	s_waitcnt vmcnt(6)
	ds_write_b128 v28, v[0:3]
	s_waitcnt vmcnt(5)
	ds_write_b128 v28, v[4:7] offset:880
	s_waitcnt vmcnt(4)
	ds_write_b128 v28, v[8:11] offset:1760
	;; [unrolled: 2-line block ×6, first 2 shown]
.LBB0_13:
	s_or_b64 exec, exec, s[4:5]
	v_lshl_add_u32 v161, v160, 4, 0
	s_waitcnt lgkmcnt(0)
	; wave barrier
	s_waitcnt lgkmcnt(0)
	ds_read_b128 v[12:15], v161 offset:5600
	ds_read_b128 v[16:19], v161 offset:560
	ds_read_b128 v[24:27], v161
	ds_read_b128 v[20:23], v161 offset:5040
	ds_read_b128 v[36:39], v161 offset:1120
	s_mov_b32 s8, 0x8eee2c13
	s_waitcnt lgkmcnt(3)
	v_add_f64 v[64:65], v[18:19], -v[14:15]
	s_mov_b32 s9, 0xbfed1bb4
	v_add_f64 v[60:61], v[16:17], v[12:13]
	s_waitcnt lgkmcnt(0)
	v_add_f64 v[70:71], v[38:39], -v[22:23]
	ds_read_b128 v[32:35], v161 offset:1680
	ds_read_b128 v[28:31], v161 offset:4480
	s_mov_b32 s6, 0xd9c712b6
	s_mov_b32 s14, 0xbb3a28a1
	;; [unrolled: 1-line block ×3, first 2 shown]
	v_mul_f64 v[86:87], v[64:65], s[8:9]
	s_mov_b32 s15, 0xbfe82f19
	v_add_f64 v[66:67], v[36:37], v[20:21]
	v_mul_f64 v[88:89], v[70:71], s[14:15]
	s_waitcnt lgkmcnt(0)
	v_add_f64 v[76:77], v[34:35], -v[30:31]
	ds_read_b128 v[40:43], v161 offset:3920
	ds_read_b128 v[44:47], v161 offset:2240
	s_mov_b32 s4, 0x7f775887
	v_fma_f64 v[0:1], v[60:61], s[6:7], -v[86:87]
	s_mov_b32 s34, 0xfd768dbf
	s_mov_b32 s5, 0xbfe4f49e
	;; [unrolled: 1-line block ×3, first 2 shown]
	v_fma_f64 v[4:5], v[66:67], s[4:5], -v[88:89]
	v_add_f64 v[72:73], v[32:33], v[28:29]
	v_mul_f64 v[82:83], v[76:77], s[34:35]
	s_waitcnt lgkmcnt(0)
	v_add_f64 v[96:97], v[46:47], -v[42:43]
	v_add_f64 v[0:1], v[24:25], v[0:1]
	s_mov_b32 s16, 0x9bcd5057
	s_mov_b32 s22, 0x43842ef
	;; [unrolled: 1-line block ×6, first 2 shown]
	v_add_f64 v[62:63], v[18:19], v[14:15]
	v_add_f64 v[0:1], v[4:5], v[0:1]
	v_fma_f64 v[4:5], v[72:73], s[16:17], -v[82:83]
	v_add_f64 v[90:91], v[44:45], v[40:41]
	v_mul_f64 v[108:109], v[96:97], s[38:39]
	s_mov_b32 s18, 0x640f44db
	s_mov_b32 s19, 0xbfc2375f
	v_add_f64 v[84:85], v[16:17], -v[12:13]
	v_add_f64 v[68:69], v[38:39], v[22:23]
	v_mul_f64 v[124:125], v[62:63], s[18:19]
	v_add_f64 v[0:1], v[4:5], v[0:1]
	v_mul_f64 v[98:99], v[62:63], s[6:7]
	v_fma_f64 v[4:5], v[90:91], s[18:19], -v[108:109]
	v_add_f64 v[78:79], v[36:37], -v[20:21]
	v_add_f64 v[74:75], v[34:35], v[30:31]
	v_mul_f64 v[120:121], v[64:65], s[22:23]
	v_mul_f64 v[126:127], v[68:69], s[16:17]
	;; [unrolled: 1-line block ×4, first 2 shown]
	v_fma_f64 v[2:3], v[84:85], s[8:9], v[98:99]
	v_add_f64 v[0:1], v[4:5], v[0:1]
	v_fma_f64 v[4:5], v[84:85], s[22:23], v[124:125]
	v_mul_f64 v[100:101], v[68:69], s[4:5]
	v_add_f64 v[80:81], v[32:33], -v[28:29]
	v_fma_f64 v[8:9], v[60:61], s[18:19], -v[120:121]
	v_mul_f64 v[122:123], v[70:71], s[34:35]
	v_fma_f64 v[132:133], v[78:79], s[34:35], v[126:127]
	v_mul_f64 v[134:135], v[74:75], s[6:7]
	v_fma_f64 v[136:137], v[60:61], s[4:5], -v[148:149]
	v_add_f64 v[4:5], v[26:27], v[4:5]
	v_mul_f64 v[144:145], v[70:71], s[38:39]
	v_fma_f64 v[138:139], v[84:85], s[14:15], v[156:157]
	v_mul_f64 v[158:159], v[68:69], s[18:19]
	s_mov_b32 s24, 0x8764f0ba
	s_mov_b32 s26, 0xf8bb580b
	;; [unrolled: 1-line block ×6, first 2 shown]
	v_add_f64 v[2:3], v[26:27], v[2:3]
	v_fma_f64 v[6:7], v[78:79], s[14:15], v[100:101]
	v_mul_f64 v[110:111], v[74:75], s[16:17]
	v_add_f64 v[92:93], v[46:47], v[42:43]
	v_add_f64 v[8:9], v[24:25], v[8:9]
	v_fma_f64 v[130:131], v[66:67], s[16:17], -v[122:123]
	v_mul_f64 v[128:129], v[76:77], s[40:41]
	v_add_f64 v[4:5], v[132:133], v[4:5]
	v_fma_f64 v[132:133], v[80:81], s[40:41], v[134:135]
	v_add_f64 v[136:137], v[24:25], v[136:137]
	v_fma_f64 v[142:143], v[66:67], s[18:19], -v[144:145]
	v_add_f64 v[146:147], v[26:27], v[138:139]
	v_fma_f64 v[152:153], v[78:79], s[38:39], v[158:159]
	v_mul_f64 v[140:141], v[76:77], s[26:27]
	v_mul_f64 v[150:151], v[74:75], s[24:25]
	ds_read_b128 v[48:51], v161 offset:2800
	ds_read_b128 v[52:55], v161 offset:3360
	s_mov_b32 s31, 0xbfd207e7
	s_mov_b32 s30, s34
	v_add_f64 v[2:3], v[6:7], v[2:3]
	v_fma_f64 v[6:7], v[80:81], s[34:35], v[110:111]
	v_add_f64 v[106:107], v[44:45], -v[40:41]
	v_mul_f64 v[116:117], v[92:93], s[18:19]
	s_waitcnt lgkmcnt(0)
	v_add_f64 v[104:105], v[50:51], -v[54:55]
	v_add_f64 v[94:95], v[50:51], v[54:55]
	v_add_f64 v[8:9], v[130:131], v[8:9]
	v_fma_f64 v[130:131], v[72:73], s[6:7], -v[128:129]
	v_add_f64 v[4:5], v[132:133], v[4:5]
	v_mul_f64 v[132:133], v[96:97], s[26:27]
	v_mul_f64 v[138:139], v[92:93], s[24:25]
	v_add_f64 v[142:143], v[142:143], v[136:137]
	v_add_f64 v[152:153], v[152:153], v[146:147]
	v_fma_f64 v[162:163], v[72:73], s[24:25], -v[140:141]
	v_fma_f64 v[164:165], v[80:81], s[26:27], v[150:151]
	v_mul_f64 v[146:147], v[96:97], s[30:31]
	v_mul_f64 v[154:155], v[92:93], s[16:17]
	s_mov_b32 s37, 0x3fe14ced
	s_mov_b32 s36, s26
	v_add_f64 v[2:3], v[6:7], v[2:3]
	v_fma_f64 v[6:7], v[106:107], s[38:39], v[116:117]
	v_add_f64 v[102:103], v[48:49], v[52:53]
	v_mul_f64 v[114:115], v[104:105], s[36:37]
	v_add_f64 v[112:113], v[48:49], -v[52:53]
	v_mul_f64 v[118:119], v[94:95], s[24:25]
	v_add_f64 v[8:9], v[130:131], v[8:9]
	v_fma_f64 v[166:167], v[90:91], s[24:25], -v[132:133]
	v_fma_f64 v[168:169], v[106:107], s[26:27], v[138:139]
	v_mul_f64 v[130:131], v[104:105], s[14:15]
	v_mul_f64 v[136:137], v[94:95], s[4:5]
	v_add_f64 v[162:163], v[162:163], v[142:143]
	v_add_f64 v[164:165], v[164:165], v[152:153]
	v_fma_f64 v[170:171], v[90:91], s[16:17], -v[146:147]
	v_fma_f64 v[172:173], v[106:107], s[30:31], v[154:155]
	v_mul_f64 v[142:143], v[104:105], s[40:41]
	v_mul_f64 v[152:153], v[94:95], s[6:7]
	v_add_f64 v[2:3], v[6:7], v[2:3]
	v_fma_f64 v[6:7], v[102:103], s[24:25], -v[114:115]
	v_fma_f64 v[10:11], v[112:113], s[36:37], v[118:119]
	v_add_f64 v[166:167], v[166:167], v[8:9]
	v_add_f64 v[168:169], v[168:169], v[4:5]
	v_fma_f64 v[4:5], v[102:103], s[4:5], -v[130:131]
	v_fma_f64 v[174:175], v[112:113], s[14:15], v[136:137]
	v_add_f64 v[162:163], v[170:171], v[162:163]
	;; [unrolled: 4-line block ×3, first 2 shown]
	v_add_f64 v[10:11], v[10:11], v[2:3]
	v_add_f64 v[4:5], v[4:5], v[166:167]
	;; [unrolled: 1-line block ×3, first 2 shown]
	v_cmp_gt_u32_e64 s[0:1], 35, v160
	v_add_f64 v[0:1], v[170:171], v[162:163]
	v_add_f64 v[2:3], v[172:173], v[164:165]
	; wave barrier
	s_and_saveexec_b64 s[28:29], s[0:1]
	s_cbranch_execz .LBB0_15
; %bb.14:
	v_mul_f64 v[162:163], v[60:61], s[4:5]
	v_mul_f64 v[172:173], v[84:85], s[22:23]
	;; [unrolled: 1-line block ×6, first 2 shown]
	v_add_f64 v[18:19], v[26:27], v[18:19]
	v_add_f64 v[16:17], v[24:25], v[16:17]
	v_add_f64 v[148:149], v[162:163], v[148:149]
	v_add_f64 v[124:125], v[124:125], -v[172:173]
	v_add_f64 v[144:145], v[184:185], v[144:145]
	v_mul_f64 v[168:169], v[84:85], s[8:9]
	v_mul_f64 v[180:181], v[66:67], s[16:17]
	;; [unrolled: 1-line block ×4, first 2 shown]
	v_add_f64 v[126:127], v[126:127], -v[182:183]
	v_add_f64 v[148:149], v[24:25], v[148:149]
	v_add_f64 v[124:125], v[26:27], v[124:125]
	;; [unrolled: 1-line block ×6, first 2 shown]
	v_mul_f64 v[178:179], v[78:79], s[14:15]
	v_mul_f64 v[222:223], v[112:113], s[14:15]
	v_add_f64 v[144:145], v[144:145], v[148:149]
	v_mul_f64 v[224:225], v[102:103], s[6:7]
	v_add_f64 v[134:135], v[134:135], -v[194:195]
	v_add_f64 v[124:125], v[126:127], v[124:125]
	v_add_f64 v[122:123], v[180:181], v[122:123]
	;; [unrolled: 1-line block ×4, first 2 shown]
	v_add_f64 v[98:99], v[98:99], -v[168:169]
	v_add_f64 v[140:141], v[140:141], v[144:145]
	v_mul_f64 v[164:165], v[84:85], s[30:31]
	v_add_f64 v[18:19], v[18:19], v[34:35]
	v_add_f64 v[32:33], v[36:37], v[32:33]
	v_mul_f64 v[166:167], v[60:61], s[6:7]
	v_mul_f64 v[190:191], v[80:81], s[34:35]
	v_add_f64 v[124:125], v[134:135], v[124:125]
	v_add_f64 v[120:121], v[122:123], v[120:121]
	;; [unrolled: 1-line block ×4, first 2 shown]
	v_add_f64 v[134:135], v[136:137], -v[222:223]
	v_add_f64 v[136:137], v[100:101], -v[178:179]
	v_add_f64 v[140:141], v[26:27], v[98:99]
	v_mul_f64 v[216:217], v[78:79], s[36:37]
	v_fma_f64 v[218:219], v[62:63], s[16:17], v[164:165]
	v_add_f64 v[18:19], v[18:19], v[46:47]
	v_add_f64 v[32:33], v[32:33], v[44:45]
	v_mul_f64 v[174:175], v[84:85], s[14:15]
	v_mul_f64 v[176:177], v[66:67], s[4:5]
	;; [unrolled: 1-line block ×3, first 2 shown]
	v_add_f64 v[98:99], v[122:123], v[126:127]
	v_add_f64 v[110:111], v[110:111], -v[190:191]
	v_add_f64 v[122:123], v[166:167], v[86:87]
	v_add_f64 v[126:127], v[136:137], v[140:141]
	v_mul_f64 v[84:85], v[84:85], s[26:27]
	v_mul_f64 v[44:45], v[64:65], s[26:27]
	;; [unrolled: 1-line block ×4, first 2 shown]
	v_fma_f64 v[232:233], v[68:69], s[24:25], v[216:217]
	v_add_f64 v[218:219], v[26:27], v[218:219]
	v_add_f64 v[18:19], v[18:19], v[50:51]
	;; [unrolled: 1-line block ×3, first 2 shown]
	v_mul_f64 v[186:187], v[78:79], s[38:39]
	v_mul_f64 v[188:189], v[72:73], s[16:17]
	v_fma_f64 v[164:165], v[62:63], s[16:17], -v[164:165]
	v_add_f64 v[156:157], v[156:157], -v[174:175]
	v_add_f64 v[116:117], v[116:117], -v[202:203]
	v_add_f64 v[88:89], v[176:177], v[88:89]
	v_add_f64 v[122:123], v[24:25], v[122:123]
	;; [unrolled: 1-line block ×3, first 2 shown]
	v_mul_f64 v[78:79], v[78:79], s[8:9]
	v_fma_f64 v[126:127], v[62:63], s[24:25], v[84:85]
	v_fma_f64 v[62:63], v[62:63], s[24:25], -v[84:85]
	v_mul_f64 v[64:65], v[70:71], s[8:9]
	v_fma_f64 v[48:49], v[60:61], s[24:25], v[44:45]
	v_mul_f64 v[234:235], v[106:107], s[40:41]
	v_mul_f64 v[238:239], v[70:71], s[36:37]
	v_fma_f64 v[242:243], v[60:61], s[16:17], -v[228:229]
	v_fma_f64 v[244:245], v[74:75], s[4:5], v[230:231]
	v_add_f64 v[218:219], v[232:233], v[218:219]
	v_fma_f64 v[228:229], v[60:61], s[16:17], v[228:229]
	v_fma_f64 v[44:45], v[60:61], s[24:25], -v[44:45]
	v_add_f64 v[18:19], v[18:19], v[54:55]
	v_add_f64 v[32:33], v[32:33], v[52:53]
	v_mul_f64 v[198:199], v[80:81], s[26:27]
	v_add_f64 v[164:165], v[26:27], v[164:165]
	v_add_f64 v[156:157], v[26:27], v[156:157]
	;; [unrolled: 1-line block ×5, first 2 shown]
	v_mul_f64 v[80:81], v[80:81], s[22:23]
	v_fma_f64 v[38:39], v[68:69], s[6:7], v[78:79]
	v_add_f64 v[116:117], v[26:27], v[126:127]
	v_mul_f64 v[50:51], v[76:77], s[22:23]
	v_fma_f64 v[60:61], v[68:69], s[6:7], -v[78:79]
	v_add_f64 v[26:27], v[26:27], v[62:63]
	v_fma_f64 v[62:63], v[66:67], s[6:7], v[64:65]
	v_add_f64 v[48:49], v[24:25], v[48:49]
	v_mul_f64 v[192:193], v[72:73], s[6:7]
	v_mul_f64 v[206:207], v[106:107], s[26:27]
	v_add_f64 v[186:187], v[158:159], -v[186:187]
	v_mul_f64 v[226:227], v[112:113], s[22:23]
	v_fma_f64 v[232:233], v[92:93], s[6:7], v[234:235]
	v_mul_f64 v[246:247], v[76:77], s[14:15]
	v_fma_f64 v[248:249], v[66:67], s[24:25], -v[238:239]
	v_fma_f64 v[216:217], v[68:69], s[24:25], -v[216:217]
	v_add_f64 v[218:219], v[244:245], v[218:219]
	v_fma_f64 v[238:239], v[66:67], s[24:25], v[238:239]
	v_add_f64 v[228:229], v[24:25], v[228:229]
	v_add_f64 v[242:243], v[24:25], v[242:243]
	v_mul_f64 v[200:201], v[90:91], s[18:19]
	v_fma_f64 v[52:53], v[66:67], s[6:7], -v[64:65]
	v_add_f64 v[24:25], v[24:25], v[44:45]
	v_add_f64 v[18:19], v[18:19], v[42:43]
	;; [unrolled: 1-line block ×4, first 2 shown]
	v_mul_f64 v[88:89], v[106:107], s[14:15]
	v_fma_f64 v[34:35], v[74:75], s[18:19], v[80:81]
	v_add_f64 v[36:37], v[38:39], v[116:117]
	v_mul_f64 v[46:47], v[96:97], s[14:15]
	v_fma_f64 v[44:45], v[74:75], s[18:19], -v[80:81]
	v_add_f64 v[26:27], v[60:61], v[26:27]
	v_fma_f64 v[54:55], v[72:73], s[18:19], v[50:51]
	v_add_f64 v[40:41], v[62:63], v[48:49]
	v_mul_f64 v[204:205], v[90:91], s[24:25]
	v_add_f64 v[138:139], v[138:139], -v[206:207]
	v_add_f64 v[128:129], v[192:193], v[128:129]
	v_mul_f64 v[210:211], v[106:107], s[30:31]
	v_add_f64 v[150:151], v[150:151], -v[198:199]
	v_add_f64 v[172:173], v[186:187], v[156:157]
	v_fma_f64 v[240:241], v[94:95], s[18:19], v[226:227]
	v_mul_f64 v[244:245], v[96:97], s[40:41]
	v_fma_f64 v[250:251], v[72:73], s[4:5], -v[246:247]
	v_fma_f64 v[230:231], v[74:75], s[4:5], -v[230:231]
	v_add_f64 v[164:165], v[216:217], v[164:165]
	v_add_f64 v[216:217], v[232:233], v[218:219]
	v_fma_f64 v[246:247], v[72:73], s[4:5], v[246:247]
	v_add_f64 v[228:229], v[238:239], v[228:229]
	v_add_f64 v[242:243], v[248:249], v[242:243]
	;; [unrolled: 1-line block ×3, first 2 shown]
	v_fma_f64 v[42:43], v[72:73], s[18:19], -v[50:51]
	v_add_f64 v[24:25], v[52:53], v[24:25]
	v_add_f64 v[18:19], v[18:19], v[30:31]
	;; [unrolled: 1-line block ×3, first 2 shown]
	v_mul_f64 v[106:107], v[112:113], s[30:31]
	v_add_f64 v[34:35], v[34:35], v[36:37]
	v_mul_f64 v[36:37], v[104:105], s[30:31]
	v_fma_f64 v[48:49], v[92:93], s[4:5], -v[88:89]
	v_add_f64 v[26:27], v[44:45], v[26:27]
	v_fma_f64 v[44:45], v[90:91], s[4:5], v[46:47]
	v_add_f64 v[30:31], v[54:55], v[40:41]
	v_mul_f64 v[212:213], v[102:103], s[24:25]
	v_mul_f64 v[214:215], v[112:113], s[36:37]
	;; [unrolled: 1-line block ×3, first 2 shown]
	v_add_f64 v[124:125], v[138:139], v[124:125]
	v_add_f64 v[132:133], v[204:205], v[132:133]
	;; [unrolled: 1-line block ×3, first 2 shown]
	v_mul_f64 v[236:237], v[112:113], s[40:41]
	v_add_f64 v[154:155], v[154:155], -v[210:211]
	v_add_f64 v[148:149], v[150:151], v[172:173]
	v_mul_f64 v[218:219], v[104:105], s[22:23]
	v_fma_f64 v[234:235], v[92:93], s[6:7], -v[234:235]
	v_add_f64 v[230:231], v[230:231], v[164:165]
	v_add_f64 v[164:165], v[240:241], v[216:217]
	v_fma_f64 v[240:241], v[90:91], s[6:7], v[244:245]
	v_add_f64 v[174:175], v[246:247], v[228:229]
	v_fma_f64 v[232:233], v[90:91], s[6:7], -v[244:245]
	v_add_f64 v[238:239], v[250:251], v[242:243]
	v_add_f64 v[82:83], v[108:109], v[82:83]
	v_fma_f64 v[108:109], v[92:93], s[4:5], v[88:89]
	v_fma_f64 v[32:33], v[90:91], s[4:5], -v[46:47]
	v_add_f64 v[24:25], v[42:43], v[24:25]
	v_add_f64 v[18:19], v[18:19], v[22:23]
	;; [unrolled: 1-line block ×3, first 2 shown]
	v_fma_f64 v[40:41], v[94:95], s[16:17], -v[106:107]
	v_add_f64 v[26:27], v[48:49], v[26:27]
	v_fma_f64 v[42:43], v[102:103], s[16:17], v[36:37]
	v_add_f64 v[28:29], v[44:45], v[30:31]
	v_add_f64 v[118:119], v[118:119], -v[214:215]
	v_add_f64 v[38:39], v[212:213], v[114:115]
	v_add_f64 v[86:87], v[134:135], v[124:125]
	;; [unrolled: 1-line block ×4, first 2 shown]
	v_add_f64 v[150:151], v[152:153], -v[236:237]
	v_add_f64 v[144:145], v[154:155], v[148:149]
	v_fma_f64 v[216:217], v[102:103], s[18:19], -v[218:219]
	v_fma_f64 v[226:227], v[94:95], s[18:19], -v[226:227]
	v_add_f64 v[230:231], v[234:235], v[230:231]
	v_fma_f64 v[218:219], v[102:103], s[18:19], v[218:219]
	v_add_f64 v[174:175], v[240:241], v[174:175]
	v_add_f64 v[228:229], v[232:233], v[238:239]
	v_fma_f64 v[30:31], v[94:95], s[16:17], v[106:107]
	v_add_f64 v[34:35], v[108:109], v[34:35]
	v_fma_f64 v[36:37], v[102:103], s[16:17], -v[36:37]
	v_add_f64 v[32:33], v[32:33], v[24:25]
	v_add_f64 v[24:25], v[18:19], v[14:15]
	;; [unrolled: 1-line block ×12, first 2 shown]
	s_movk_i32 s0, 0xa0
	v_mad_u32_u24 v12, v160, s0, v161
	v_add_f64 v[28:29], v[30:31], v[34:35]
	v_add_f64 v[26:27], v[36:37], v[32:33]
	ds_write_b128 v12, v[22:25]
	ds_write_b128 v12, v[18:21] offset:16
	ds_write_b128 v12, v[14:17] offset:32
	ds_write_b128 v12, v[84:87] offset:48
	ds_write_b128 v12, v[98:101] offset:64
	ds_write_b128 v12, v[156:159] offset:80
	ds_write_b128 v12, v[162:165] offset:96
	ds_write_b128 v12, v[0:3] offset:112
	ds_write_b128 v12, v[4:7] offset:128
	ds_write_b128 v12, v[8:11] offset:144
	ds_write_b128 v12, v[26:29] offset:160
.LBB0_15:
	s_or_b64 exec, exec, s[28:29]
	s_movk_i32 s0, 0x75
	v_mul_lo_u16_sdwa v12, v160, s0 dst_sel:DWORD dst_unused:UNUSED_PAD src0_sel:BYTE_0 src1_sel:DWORD
	v_sub_u16_sdwa v13, v160, v12 dst_sel:DWORD dst_unused:UNUSED_PAD src0_sel:DWORD src1_sel:BYTE_1
	v_lshrrev_b16_e32 v13, 1, v13
	v_and_b32_e32 v13, 0x7f, v13
	v_add_u16_sdwa v12, v13, v12 dst_sel:DWORD dst_unused:UNUSED_PAD src0_sel:DWORD src1_sel:BYTE_1
	v_lshrrev_b16_e32 v68, 3, v12
	v_mul_lo_u16_e32 v12, 11, v68
	v_sub_u16_e32 v69, v160, v12
	v_mov_b32_e32 v12, 6
	v_mul_u32_u24_sdwa v12, v69, v12 dst_sel:DWORD dst_unused:UNUSED_PAD src0_sel:BYTE_0 src1_sel:DWORD
	v_lshlrev_b32_e32 v36, 4, v12
	s_load_dwordx2 s[4:5], s[2:3], 0x0
	s_waitcnt lgkmcnt(0)
	; wave barrier
	s_waitcnt lgkmcnt(0)
	global_load_dwordx4 v[12:15], v36, s[12:13]
	global_load_dwordx4 v[16:19], v36, s[12:13] offset:16
	global_load_dwordx4 v[20:23], v36, s[12:13] offset:32
	;; [unrolled: 1-line block ×5, first 2 shown]
	ds_read_b128 v[36:39], v161
	ds_read_b128 v[40:43], v161 offset:880
	ds_read_b128 v[44:47], v161 offset:1760
	;; [unrolled: 1-line block ×6, first 2 shown]
	v_mov_b32_e32 v70, 4
	v_mul_u32_u24_e32 v80, 0x4d0, v68
	v_lshlrev_b32_sdwa v81, v70, v69 dst_sel:DWORD dst_unused:UNUSED_PAD src0_sel:DWORD src1_sel:BYTE_0
	s_mov_b32 s2, 0x37e14327
	s_mov_b32 s0, 0x36b3c0b5
	;; [unrolled: 1-line block ×16, first 2 shown]
	s_waitcnt lgkmcnt(0)
	; wave barrier
	s_waitcnt vmcnt(5) lgkmcnt(0)
	v_mul_f64 v[68:69], v[42:43], v[14:15]
	v_mul_f64 v[14:15], v[40:41], v[14:15]
	s_waitcnt vmcnt(4)
	v_mul_f64 v[70:71], v[46:47], v[18:19]
	v_mul_f64 v[18:19], v[44:45], v[18:19]
	s_waitcnt vmcnt(3)
	;; [unrolled: 3-line block ×4, first 2 shown]
	v_mul_f64 v[78:79], v[62:63], v[34:35]
	v_mul_f64 v[34:35], v[60:61], v[34:35]
	;; [unrolled: 1-line block ×4, first 2 shown]
	v_fma_f64 v[40:41], v[40:41], v[12:13], v[68:69]
	v_fma_f64 v[12:13], v[42:43], v[12:13], -v[14:15]
	v_fma_f64 v[14:15], v[44:45], v[16:17], v[70:71]
	v_fma_f64 v[16:17], v[46:47], v[16:17], -v[18:19]
	;; [unrolled: 2-line block ×6, first 2 shown]
	v_add_f64 v[26:27], v[40:41], v[18:19]
	v_add_f64 v[42:43], v[12:13], v[28:29]
	v_add_f64 v[18:19], v[40:41], -v[18:19]
	v_add_f64 v[12:13], v[12:13], -v[28:29]
	v_add_f64 v[28:29], v[14:15], v[22:23]
	v_add_f64 v[40:41], v[16:17], v[32:33]
	v_add_f64 v[14:15], v[14:15], -v[22:23]
	v_add_f64 v[16:17], v[16:17], -v[32:33]
	;; [unrolled: 4-line block ×4, first 2 shown]
	v_add_f64 v[28:29], v[22:23], -v[28:29]
	v_add_f64 v[42:43], v[42:43], -v[32:33]
	;; [unrolled: 1-line block ×3, first 2 shown]
	v_add_f64 v[48:49], v[30:31], v[14:15]
	v_add_f64 v[50:51], v[20:21], v[16:17]
	v_add_f64 v[52:53], v[30:31], -v[14:15]
	v_add_f64 v[54:55], v[20:21], -v[16:17]
	;; [unrolled: 1-line block ×4, first 2 shown]
	v_add_f64 v[24:25], v[22:23], v[24:25]
	v_add_f64 v[32:33], v[32:33], v[34:35]
	v_add_f64 v[14:15], v[14:15], -v[18:19]
	v_add_f64 v[30:31], v[18:19], -v[30:31]
	;; [unrolled: 1-line block ×3, first 2 shown]
	v_add_f64 v[18:19], v[48:49], v[18:19]
	v_add_f64 v[12:13], v[50:51], v[12:13]
	v_mul_f64 v[34:35], v[42:43], s[2:3]
	v_mul_f64 v[42:43], v[28:29], s[0:1]
	;; [unrolled: 1-line block ×7, first 2 shown]
	v_add_f64 v[20:21], v[36:37], v[24:25]
	v_add_f64 v[22:23], v[38:39], v[32:33]
	v_mul_f64 v[54:55], v[14:15], s[6:7]
	v_fma_f64 v[36:37], v[40:41], s[0:1], v[34:35]
	v_fma_f64 v[38:39], v[44:45], s[16:17], -v[42:43]
	v_fma_f64 v[40:41], v[46:47], s[16:17], -v[48:49]
	s_mov_b32 s17, 0xbfe77f67
	v_fma_f64 v[42:43], v[30:31], s[18:19], v[50:51]
	v_fma_f64 v[48:49], v[60:61], s[18:19], v[52:53]
	s_mov_b32 s19, 0x3fd5d0dc
	v_fma_f64 v[28:29], v[28:29], s[0:1], v[26:27]
	v_fma_f64 v[16:17], v[16:17], s[6:7], -v[52:53]
	v_fma_f64 v[26:27], v[44:45], s[16:17], -v[26:27]
	v_fma_f64 v[44:45], v[60:61], s[18:19], -v[62:63]
	v_fma_f64 v[24:25], v[24:25], s[8:9], v[20:21]
	v_fma_f64 v[32:33], v[32:33], s[8:9], v[22:23]
	v_fma_f64 v[14:15], v[14:15], s[6:7], -v[50:51]
	v_fma_f64 v[34:35], v[46:47], s[16:17], -v[34:35]
	;; [unrolled: 1-line block ×3, first 2 shown]
	v_fma_f64 v[42:43], v[18:19], s[22:23], v[42:43]
	v_fma_f64 v[46:47], v[12:13], s[22:23], v[48:49]
	;; [unrolled: 1-line block ×4, first 2 shown]
	v_add_f64 v[44:45], v[28:29], v[24:25]
	v_add_f64 v[48:49], v[36:37], v[32:33]
	v_fma_f64 v[14:15], v[18:19], s[22:23], v[14:15]
	v_fma_f64 v[18:19], v[18:19], s[22:23], v[30:31]
	v_add_f64 v[50:51], v[26:27], v[24:25]
	v_add_f64 v[52:53], v[34:35], v[32:33]
	;; [unrolled: 1-line block ×5, first 2 shown]
	v_add_f64 v[26:27], v[48:49], -v[42:43]
	v_add3_u32 v40, 0, v80, v81
	v_cmp_gt_u32_e64 s[0:1], 22, v160
	v_add_f64 v[28:29], v[12:13], v[50:51]
	v_add_f64 v[30:31], v[52:53], -v[18:19]
	v_add_f64 v[32:33], v[36:37], -v[16:17]
	v_add_f64 v[34:35], v[14:15], v[38:39]
	v_add_f64 v[36:37], v[16:17], v[36:37]
	v_add_f64 v[38:39], v[38:39], -v[14:15]
	v_add_f64 v[12:13], v[50:51], -v[12:13]
	v_add_f64 v[14:15], v[18:19], v[52:53]
	v_add_f64 v[16:17], v[44:45], -v[46:47]
	v_add_f64 v[18:19], v[42:43], v[48:49]
	ds_write_b128 v40, v[20:23]
	ds_write_b128 v40, v[24:27] offset:176
	ds_write_b128 v40, v[28:31] offset:352
	;; [unrolled: 1-line block ×6, first 2 shown]
	s_waitcnt lgkmcnt(0)
	; wave barrier
	s_waitcnt lgkmcnt(0)
	ds_read_b128 v[20:23], v161
	ds_read_b128 v[36:39], v161 offset:1232
	ds_read_b128 v[32:35], v161 offset:2464
	;; [unrolled: 1-line block ×4, first 2 shown]
	s_and_saveexec_b64 s[2:3], s[0:1]
	s_cbranch_execz .LBB0_17
; %bb.16:
	ds_read_b128 v[12:15], v161 offset:880
	ds_read_b128 v[16:19], v161 offset:2112
	;; [unrolled: 1-line block ×5, first 2 shown]
.LBB0_17:
	s_or_b64 exec, exec, s[2:3]
	v_lshlrev_b32_e32 v40, 2, v160
	v_mov_b32_e32 v41, 0
	v_lshlrev_b64 v[42:43], 4, v[40:41]
	v_mov_b32_e32 v40, s13
	v_add_co_u32_e64 v54, s[2:3], s12, v42
	v_addc_co_u32_e64 v55, s[2:3], v40, v43, s[2:3]
	global_load_dwordx4 v[42:45], v[54:55], off offset:1056
	global_load_dwordx4 v[46:49], v[54:55], off offset:1072
	;; [unrolled: 1-line block ×4, first 2 shown]
	s_mov_b32 s8, 0x134454ff
	s_mov_b32 s9, 0xbfee6f0e
	s_mov_b32 s15, 0x3fee6f0e
	s_mov_b32 s14, s8
	s_mov_b32 s6, 0x4755a5e
	s_mov_b32 s7, 0xbfe2cf23
	s_mov_b32 s17, 0x3fe2cf23
	s_mov_b32 s16, s6
	s_mov_b32 s2, 0x372fe950
	s_mov_b32 s3, 0x3fd3c6ef
	s_waitcnt lgkmcnt(0)
	; wave barrier
	s_waitcnt vmcnt(3) lgkmcnt(0)
	v_mul_f64 v[54:55], v[38:39], v[44:45]
	v_mul_f64 v[44:45], v[36:37], v[44:45]
	s_waitcnt vmcnt(2)
	v_mul_f64 v[64:65], v[34:35], v[48:49]
	v_mul_f64 v[48:49], v[32:33], v[48:49]
	s_waitcnt vmcnt(1)
	v_mul_f64 v[66:67], v[30:31], v[52:53]
	s_waitcnt vmcnt(0)
	v_mul_f64 v[68:69], v[24:25], v[62:63]
	v_mul_f64 v[52:53], v[28:29], v[52:53]
	;; [unrolled: 1-line block ×3, first 2 shown]
	v_fma_f64 v[36:37], v[36:37], v[42:43], v[54:55]
	v_fma_f64 v[38:39], v[38:39], v[42:43], -v[44:45]
	v_fma_f64 v[32:33], v[32:33], v[46:47], v[64:65]
	v_fma_f64 v[34:35], v[34:35], v[46:47], -v[48:49]
	v_fma_f64 v[28:29], v[28:29], v[50:51], v[66:67]
	v_fma_f64 v[26:27], v[26:27], v[60:61], -v[68:69]
	v_fma_f64 v[30:31], v[30:31], v[50:51], -v[52:53]
	v_fma_f64 v[24:25], v[24:25], v[60:61], v[62:63]
	v_add_f64 v[42:43], v[20:21], v[36:37]
	v_add_f64 v[64:65], v[22:23], v[38:39]
	v_add_f64 v[50:51], v[36:37], -v[32:33]
	v_add_f64 v[60:61], v[32:33], -v[36:37]
	v_add_f64 v[44:45], v[32:33], v[28:29]
	v_add_f64 v[74:75], v[38:39], v[26:27]
	;; [unrolled: 1-line block ×3, first 2 shown]
	v_add_f64 v[52:53], v[24:25], -v[28:29]
	v_add_f64 v[54:55], v[36:37], v[24:25]
	v_add_f64 v[46:47], v[38:39], -v[26:27]
	v_add_f64 v[48:49], v[34:35], -v[30:31]
	;; [unrolled: 1-line block ×6, first 2 shown]
	v_add_f64 v[32:33], v[42:43], v[32:33]
	v_fma_f64 v[42:43], v[44:45], -0.5, v[20:21]
	v_add_f64 v[44:45], v[50:51], v[52:53]
	v_add_f64 v[34:35], v[64:65], v[34:35]
	v_fma_f64 v[52:53], v[66:67], -0.5, v[22:23]
	v_add_f64 v[62:63], v[28:29], -v[24:25]
	v_fma_f64 v[20:21], v[54:55], -0.5, v[20:21]
	v_fma_f64 v[22:23], v[74:75], -0.5, v[22:23]
	v_add_f64 v[72:73], v[26:27], -v[30:31]
	v_add_f64 v[76:77], v[30:31], -v[26:27]
	v_add_f64 v[28:29], v[32:33], v[28:29]
	v_fma_f64 v[32:33], v[46:47], s[8:9], v[42:43]
	v_add_f64 v[30:31], v[34:35], v[30:31]
	v_fma_f64 v[34:35], v[36:37], s[14:15], v[52:53]
	;; [unrolled: 2-line block ×3, first 2 shown]
	v_fma_f64 v[64:65], v[68:69], s[8:9], v[22:23]
	v_fma_f64 v[42:43], v[46:47], s[14:15], v[42:43]
	;; [unrolled: 1-line block ×5, first 2 shown]
	v_add_f64 v[54:55], v[70:71], v[72:73]
	v_add_f64 v[20:21], v[28:29], v[24:25]
	v_fma_f64 v[24:25], v[48:49], s[6:7], v[32:33]
	v_add_f64 v[22:23], v[30:31], v[26:27]
	v_fma_f64 v[26:27], v[68:69], s[16:17], v[34:35]
	;; [unrolled: 2-line block ×3, first 2 shown]
	v_fma_f64 v[30:31], v[36:37], s[16:17], v[64:65]
	v_fma_f64 v[28:29], v[48:49], s[16:17], v[42:43]
	;; [unrolled: 1-line block ×13, first 2 shown]
	ds_write_b128 v161, v[20:23]
	ds_write_b128 v161, v[24:27] offset:1232
	ds_write_b128 v161, v[32:35] offset:2464
	;; [unrolled: 1-line block ×4, first 2 shown]
	s_and_saveexec_b64 s[18:19], s[0:1]
	s_cbranch_execz .LBB0_19
; %bb.18:
	v_not_b32_e32 v20, 21
	v_cndmask_b32_e64 v20, v20, 55, s[0:1]
	v_add_lshl_u32 v40, v160, v20, 2
	v_lshlrev_b64 v[20:21], 4, v[40:41]
	v_mov_b32_e32 v22, s13
	v_add_co_u32_e64 v36, s[0:1], s12, v20
	v_addc_co_u32_e64 v37, s[0:1], v22, v21, s[0:1]
	global_load_dwordx4 v[20:23], v[36:37], off offset:1072
	global_load_dwordx4 v[24:27], v[36:37], off offset:1056
	;; [unrolled: 1-line block ×4, first 2 shown]
	s_waitcnt vmcnt(3)
	v_mul_f64 v[36:37], v[0:1], v[22:23]
	s_waitcnt vmcnt(2)
	v_mul_f64 v[38:39], v[16:17], v[26:27]
	;; [unrolled: 2-line block ×4, first 2 shown]
	v_mul_f64 v[22:23], v[2:3], v[22:23]
	v_mul_f64 v[30:31], v[6:7], v[30:31]
	;; [unrolled: 1-line block ×4, first 2 shown]
	v_fma_f64 v[2:3], v[2:3], v[20:21], -v[36:37]
	v_fma_f64 v[18:19], v[18:19], v[24:25], -v[38:39]
	;; [unrolled: 1-line block ×4, first 2 shown]
	v_fma_f64 v[0:1], v[0:1], v[20:21], v[22:23]
	v_fma_f64 v[4:5], v[4:5], v[28:29], v[30:31]
	;; [unrolled: 1-line block ×4, first 2 shown]
	v_add_f64 v[20:21], v[2:3], -v[18:19]
	v_add_f64 v[30:31], v[18:19], -v[2:3]
	;; [unrolled: 1-line block ×3, first 2 shown]
	v_add_f64 v[26:27], v[18:19], v[10:11]
	v_add_f64 v[32:33], v[10:11], -v[6:7]
	v_add_f64 v[34:35], v[2:3], v[6:7]
	v_add_f64 v[42:43], v[16:17], v[8:9]
	;; [unrolled: 1-line block ×4, first 2 shown]
	v_add_f64 v[28:29], v[16:17], -v[8:9]
	v_add_f64 v[38:39], v[0:1], -v[16:17]
	;; [unrolled: 1-line block ×3, first 2 shown]
	v_add_f64 v[16:17], v[12:13], v[16:17]
	v_add_f64 v[24:25], v[0:1], -v[4:5]
	v_add_f64 v[40:41], v[4:5], -v[8:9]
	v_add_f64 v[18:19], v[18:19], -v[10:11]
	v_add_f64 v[20:21], v[20:21], v[22:23]
	v_fma_f64 v[22:23], v[26:27], -0.5, v[14:15]
	v_add_f64 v[26:27], v[30:31], v[32:33]
	v_fma_f64 v[14:15], v[34:35], -0.5, v[14:15]
	v_fma_f64 v[32:33], v[42:43], -0.5, v[12:13]
	;; [unrolled: 1-line block ×3, first 2 shown]
	v_add_f64 v[44:45], v[2:3], -v[6:7]
	v_add_f64 v[2:3], v[36:37], v[2:3]
	v_add_f64 v[0:1], v[16:17], v[0:1]
	v_add_f64 v[48:49], v[8:9], -v[4:5]
	v_add_f64 v[30:31], v[38:39], v[40:41]
	v_fma_f64 v[16:17], v[24:25], s[14:15], v[22:23]
	v_fma_f64 v[22:23], v[24:25], s[8:9], v[22:23]
	;; [unrolled: 1-line block ×6, first 2 shown]
	v_add_f64 v[2:3], v[2:3], v[6:7]
	v_fma_f64 v[6:7], v[44:45], s[8:9], v[32:33]
	v_fma_f64 v[32:33], v[44:45], s[14:15], v[32:33]
	v_add_f64 v[0:1], v[0:1], v[4:5]
	v_add_f64 v[34:35], v[46:47], v[48:49]
	v_fma_f64 v[4:5], v[28:29], s[6:7], v[16:17]
	v_fma_f64 v[16:17], v[28:29], s[16:17], v[22:23]
	;; [unrolled: 1-line block ×8, first 2 shown]
	v_add_f64 v[2:3], v[2:3], v[10:11]
	v_add_f64 v[0:1], v[0:1], v[8:9]
	v_fma_f64 v[10:11], v[20:21], s[2:3], v[16:17]
	v_fma_f64 v[18:19], v[26:27], s[2:3], v[24:25]
	;; [unrolled: 1-line block ×8, first 2 shown]
	ds_write_b128 v161, v[0:3] offset:880
	ds_write_b128 v161, v[16:19] offset:2112
	;; [unrolled: 1-line block ×5, first 2 shown]
.LBB0_19:
	s_or_b64 exec, exec, s[18:19]
	s_waitcnt lgkmcnt(0)
	; wave barrier
	s_waitcnt lgkmcnt(0)
	s_and_saveexec_b64 s[0:1], vcc
	s_cbranch_execz .LBB0_21
; %bb.20:
	v_mad_u64_u32 v[0:1], s[0:1], s20, v160, 0
	v_mad_u64_u32 v[2:3], s[0:1], s4, v58, 0
	v_mul_lo_u32 v6, s5, v58
	v_mul_lo_u32 v7, s4, v59
	v_mad_u64_u32 v[4:5], s[0:1], s21, v160, v[1:2]
	v_lshl_add_u32 v15, v160, 4, 0
	v_add3_u32 v3, v3, v7, v6
	v_lshlrev_b64 v[2:3], 4, v[2:3]
	v_mov_b32_e32 v1, v4
	v_mov_b32_e32 v4, s11
	v_add_co_u32_e32 v5, vcc, s10, v2
	v_addc_co_u32_e32 v4, vcc, v4, v3, vcc
	v_lshlrev_b64 v[2:3], 4, v[56:57]
	v_lshlrev_b64 v[0:1], 4, v[0:1]
	v_add_co_u32_e32 v16, vcc, v5, v2
	v_add_u32_e32 v2, 55, v160
	v_mad_u64_u32 v[8:9], s[0:1], s20, v2, 0
	v_addc_co_u32_e32 v17, vcc, v4, v3, vcc
	v_add_co_u32_e32 v10, vcc, v16, v0
	v_mov_b32_e32 v0, v9
	v_mad_u64_u32 v[12:13], s[0:1], s21, v2, v[0:1]
	v_add_u32_e32 v18, 0x6e, v160
	v_addc_co_u32_e32 v11, vcc, v17, v1, vcc
	ds_read_b128 v[0:3], v15
	ds_read_b128 v[4:7], v15 offset:880
	v_mad_u64_u32 v[13:14], s[0:1], s20, v18, 0
	v_mov_b32_e32 v9, v12
	s_waitcnt lgkmcnt(1)
	global_store_dwordx4 v[10:11], v[0:3], off
	s_nop 0
	v_mov_b32_e32 v2, v14
	v_mad_u64_u32 v[2:3], s[0:1], s21, v18, v[2:3]
	v_lshlrev_b64 v[0:1], 4, v[8:9]
	v_add_u32_e32 v18, 0xdc, v160
	v_mov_b32_e32 v14, v2
	v_add_u32_e32 v2, 0xa5, v160
	v_add_co_u32_e32 v0, vcc, v16, v0
	v_mad_u64_u32 v[8:9], s[0:1], s20, v2, 0
	v_addc_co_u32_e32 v1, vcc, v17, v1, vcc
	s_waitcnt lgkmcnt(0)
	global_store_dwordx4 v[0:1], v[4:7], off
	v_lshlrev_b64 v[0:1], 4, v[13:14]
	v_add_co_u32_e32 v10, vcc, v16, v0
	v_mov_b32_e32 v0, v9
	v_mad_u64_u32 v[12:13], s[0:1], s21, v2, v[0:1]
	v_addc_co_u32_e32 v11, vcc, v17, v1, vcc
	ds_read_b128 v[0:3], v15 offset:1760
	ds_read_b128 v[4:7], v15 offset:2640
	v_mad_u64_u32 v[13:14], s[0:1], s20, v18, 0
	v_mov_b32_e32 v9, v12
	s_waitcnt lgkmcnt(1)
	global_store_dwordx4 v[10:11], v[0:3], off
	s_nop 0
	v_mov_b32_e32 v2, v14
	v_mad_u64_u32 v[2:3], s[0:1], s21, v18, v[2:3]
	v_lshlrev_b64 v[0:1], 4, v[8:9]
	v_add_u32_e32 v18, 0x14a, v160
	v_mov_b32_e32 v14, v2
	v_add_u32_e32 v2, 0x113, v160
	v_add_co_u32_e32 v0, vcc, v16, v0
	v_mad_u64_u32 v[8:9], s[0:1], s20, v2, 0
	v_addc_co_u32_e32 v1, vcc, v17, v1, vcc
	s_waitcnt lgkmcnt(0)
	global_store_dwordx4 v[0:1], v[4:7], off
	v_lshlrev_b64 v[0:1], 4, v[13:14]
	v_add_co_u32_e32 v10, vcc, v16, v0
	v_mov_b32_e32 v0, v9
	v_mad_u64_u32 v[12:13], s[0:1], s21, v2, v[0:1]
	v_addc_co_u32_e32 v11, vcc, v17, v1, vcc
	ds_read_b128 v[0:3], v15 offset:3520
	ds_read_b128 v[4:7], v15 offset:4400
	v_mad_u64_u32 v[13:14], s[0:1], s20, v18, 0
	v_mov_b32_e32 v9, v12
	s_waitcnt lgkmcnt(1)
	global_store_dwordx4 v[10:11], v[0:3], off
	s_nop 0
	v_mov_b32_e32 v2, v14
	v_lshlrev_b64 v[0:1], 4, v[8:9]
	v_mad_u64_u32 v[2:3], s[0:1], s21, v18, v[2:3]
	v_add_co_u32_e32 v0, vcc, v16, v0
	v_addc_co_u32_e32 v1, vcc, v17, v1, vcc
	s_waitcnt lgkmcnt(0)
	global_store_dwordx4 v[0:1], v[4:7], off
	v_mov_b32_e32 v14, v2
	ds_read_b128 v[0:3], v15 offset:5280
	v_lshlrev_b64 v[4:5], 4, v[13:14]
	v_add_co_u32_e32 v4, vcc, v16, v4
	v_addc_co_u32_e32 v5, vcc, v17, v5, vcc
	s_waitcnt lgkmcnt(0)
	global_store_dwordx4 v[4:5], v[0:3], off
.LBB0_21:
	s_endpgm
	.section	.rodata,"a",@progbits
	.p2align	6, 0x0
	.amdhsa_kernel fft_rtc_back_len385_factors_11_7_5_wgs_55_tpt_55_dp_op_CI_CI_sbrr_dirReg
		.amdhsa_group_segment_fixed_size 0
		.amdhsa_private_segment_fixed_size 0
		.amdhsa_kernarg_size 104
		.amdhsa_user_sgpr_count 6
		.amdhsa_user_sgpr_private_segment_buffer 1
		.amdhsa_user_sgpr_dispatch_ptr 0
		.amdhsa_user_sgpr_queue_ptr 0
		.amdhsa_user_sgpr_kernarg_segment_ptr 1
		.amdhsa_user_sgpr_dispatch_id 0
		.amdhsa_user_sgpr_flat_scratch_init 0
		.amdhsa_user_sgpr_private_segment_size 0
		.amdhsa_uses_dynamic_stack 0
		.amdhsa_system_sgpr_private_segment_wavefront_offset 0
		.amdhsa_system_sgpr_workgroup_id_x 1
		.amdhsa_system_sgpr_workgroup_id_y 0
		.amdhsa_system_sgpr_workgroup_id_z 0
		.amdhsa_system_sgpr_workgroup_info 0
		.amdhsa_system_vgpr_workitem_id 0
		.amdhsa_next_free_vgpr 252
		.amdhsa_next_free_sgpr 42
		.amdhsa_reserve_vcc 1
		.amdhsa_reserve_flat_scratch 0
		.amdhsa_float_round_mode_32 0
		.amdhsa_float_round_mode_16_64 0
		.amdhsa_float_denorm_mode_32 3
		.amdhsa_float_denorm_mode_16_64 3
		.amdhsa_dx10_clamp 1
		.amdhsa_ieee_mode 1
		.amdhsa_fp16_overflow 0
		.amdhsa_exception_fp_ieee_invalid_op 0
		.amdhsa_exception_fp_denorm_src 0
		.amdhsa_exception_fp_ieee_div_zero 0
		.amdhsa_exception_fp_ieee_overflow 0
		.amdhsa_exception_fp_ieee_underflow 0
		.amdhsa_exception_fp_ieee_inexact 0
		.amdhsa_exception_int_div_zero 0
	.end_amdhsa_kernel
	.text
.Lfunc_end0:
	.size	fft_rtc_back_len385_factors_11_7_5_wgs_55_tpt_55_dp_op_CI_CI_sbrr_dirReg, .Lfunc_end0-fft_rtc_back_len385_factors_11_7_5_wgs_55_tpt_55_dp_op_CI_CI_sbrr_dirReg
                                        ; -- End function
	.section	.AMDGPU.csdata,"",@progbits
; Kernel info:
; codeLenInByte = 8284
; NumSgprs: 46
; NumVgprs: 252
; ScratchSize: 0
; MemoryBound: 0
; FloatMode: 240
; IeeeMode: 1
; LDSByteSize: 0 bytes/workgroup (compile time only)
; SGPRBlocks: 5
; VGPRBlocks: 62
; NumSGPRsForWavesPerEU: 46
; NumVGPRsForWavesPerEU: 252
; Occupancy: 1
; WaveLimiterHint : 1
; COMPUTE_PGM_RSRC2:SCRATCH_EN: 0
; COMPUTE_PGM_RSRC2:USER_SGPR: 6
; COMPUTE_PGM_RSRC2:TRAP_HANDLER: 0
; COMPUTE_PGM_RSRC2:TGID_X_EN: 1
; COMPUTE_PGM_RSRC2:TGID_Y_EN: 0
; COMPUTE_PGM_RSRC2:TGID_Z_EN: 0
; COMPUTE_PGM_RSRC2:TIDIG_COMP_CNT: 0
	.type	__hip_cuid_e78a647b0a8b6eb9,@object ; @__hip_cuid_e78a647b0a8b6eb9
	.section	.bss,"aw",@nobits
	.globl	__hip_cuid_e78a647b0a8b6eb9
__hip_cuid_e78a647b0a8b6eb9:
	.byte	0                               ; 0x0
	.size	__hip_cuid_e78a647b0a8b6eb9, 1

	.ident	"AMD clang version 19.0.0git (https://github.com/RadeonOpenCompute/llvm-project roc-6.4.0 25133 c7fe45cf4b819c5991fe208aaa96edf142730f1d)"
	.section	".note.GNU-stack","",@progbits
	.addrsig
	.addrsig_sym __hip_cuid_e78a647b0a8b6eb9
	.amdgpu_metadata
---
amdhsa.kernels:
  - .args:
      - .actual_access:  read_only
        .address_space:  global
        .offset:         0
        .size:           8
        .value_kind:     global_buffer
      - .offset:         8
        .size:           8
        .value_kind:     by_value
      - .actual_access:  read_only
        .address_space:  global
        .offset:         16
        .size:           8
        .value_kind:     global_buffer
      - .actual_access:  read_only
        .address_space:  global
        .offset:         24
        .size:           8
        .value_kind:     global_buffer
      - .actual_access:  read_only
        .address_space:  global
        .offset:         32
        .size:           8
        .value_kind:     global_buffer
      - .offset:         40
        .size:           8
        .value_kind:     by_value
      - .actual_access:  read_only
        .address_space:  global
        .offset:         48
        .size:           8
        .value_kind:     global_buffer
      - .actual_access:  read_only
        .address_space:  global
        .offset:         56
        .size:           8
        .value_kind:     global_buffer
      - .offset:         64
        .size:           4
        .value_kind:     by_value
      - .actual_access:  read_only
        .address_space:  global
        .offset:         72
        .size:           8
        .value_kind:     global_buffer
      - .actual_access:  read_only
        .address_space:  global
        .offset:         80
        .size:           8
        .value_kind:     global_buffer
      - .actual_access:  read_only
        .address_space:  global
        .offset:         88
        .size:           8
        .value_kind:     global_buffer
      - .actual_access:  write_only
        .address_space:  global
        .offset:         96
        .size:           8
        .value_kind:     global_buffer
    .group_segment_fixed_size: 0
    .kernarg_segment_align: 8
    .kernarg_segment_size: 104
    .language:       OpenCL C
    .language_version:
      - 2
      - 0
    .max_flat_workgroup_size: 55
    .name:           fft_rtc_back_len385_factors_11_7_5_wgs_55_tpt_55_dp_op_CI_CI_sbrr_dirReg
    .private_segment_fixed_size: 0
    .sgpr_count:     46
    .sgpr_spill_count: 0
    .symbol:         fft_rtc_back_len385_factors_11_7_5_wgs_55_tpt_55_dp_op_CI_CI_sbrr_dirReg.kd
    .uniform_work_group_size: 1
    .uses_dynamic_stack: false
    .vgpr_count:     252
    .vgpr_spill_count: 0
    .wavefront_size: 64
amdhsa.target:   amdgcn-amd-amdhsa--gfx906
amdhsa.version:
  - 1
  - 2
...

	.end_amdgpu_metadata
